;; amdgpu-corpus repo=ROCm/rocFFT kind=compiled arch=gfx906 opt=O3
	.text
	.amdgcn_target "amdgcn-amd-amdhsa--gfx906"
	.amdhsa_code_object_version 6
	.protected	fft_rtc_fwd_len2500_factors_10_5_10_5_wgs_250_tpt_250_halfLds_sp_op_CI_CI_unitstride_sbrr_C2R_dirReg ; -- Begin function fft_rtc_fwd_len2500_factors_10_5_10_5_wgs_250_tpt_250_halfLds_sp_op_CI_CI_unitstride_sbrr_C2R_dirReg
	.globl	fft_rtc_fwd_len2500_factors_10_5_10_5_wgs_250_tpt_250_halfLds_sp_op_CI_CI_unitstride_sbrr_C2R_dirReg
	.p2align	8
	.type	fft_rtc_fwd_len2500_factors_10_5_10_5_wgs_250_tpt_250_halfLds_sp_op_CI_CI_unitstride_sbrr_C2R_dirReg,@function
fft_rtc_fwd_len2500_factors_10_5_10_5_wgs_250_tpt_250_halfLds_sp_op_CI_CI_unitstride_sbrr_C2R_dirReg: ; @fft_rtc_fwd_len2500_factors_10_5_10_5_wgs_250_tpt_250_halfLds_sp_op_CI_CI_unitstride_sbrr_C2R_dirReg
; %bb.0:
	s_load_dwordx4 s[8:11], s[4:5], 0x58
	s_load_dwordx4 s[12:15], s[4:5], 0x0
	;; [unrolled: 1-line block ×3, first 2 shown]
	v_mul_u32_u24_e32 v1, 0x107, v0
	v_mov_b32_e32 v8, 0
	v_mov_b32_e32 v6, 0
	s_waitcnt lgkmcnt(0)
	v_cmp_lt_u64_e64 s[0:1], s[14:15], 2
	v_add_u32_sdwa v10, s6, v1 dst_sel:DWORD dst_unused:UNUSED_PAD src0_sel:DWORD src1_sel:WORD_1
	v_mov_b32_e32 v11, v8
	s_and_b64 vcc, exec, s[0:1]
	v_mov_b32_e32 v7, 0
	s_cbranch_vccnz .LBB0_8
; %bb.1:
	s_load_dwordx2 s[0:1], s[4:5], 0x10
	s_add_u32 s2, s18, 8
	s_addc_u32 s3, s19, 0
	s_add_u32 s6, s16, 8
	s_addc_u32 s7, s17, 0
	v_mov_b32_e32 v6, 0
	s_waitcnt lgkmcnt(0)
	s_add_u32 s20, s0, 8
	v_mov_b32_e32 v7, 0
	v_mov_b32_e32 v1, v6
	s_addc_u32 s21, s1, 0
	s_mov_b64 s[22:23], 1
	v_mov_b32_e32 v2, v7
.LBB0_2:                                ; =>This Inner Loop Header: Depth=1
	s_load_dwordx2 s[24:25], s[20:21], 0x0
                                        ; implicit-def: $vgpr3_vgpr4
	s_waitcnt lgkmcnt(0)
	v_or_b32_e32 v9, s25, v11
	v_cmp_ne_u64_e32 vcc, 0, v[8:9]
	s_and_saveexec_b64 s[0:1], vcc
	s_xor_b64 s[26:27], exec, s[0:1]
	s_cbranch_execz .LBB0_4
; %bb.3:                                ;   in Loop: Header=BB0_2 Depth=1
	v_cvt_f32_u32_e32 v3, s24
	v_cvt_f32_u32_e32 v4, s25
	s_sub_u32 s0, 0, s24
	s_subb_u32 s1, 0, s25
	v_mac_f32_e32 v3, 0x4f800000, v4
	v_rcp_f32_e32 v3, v3
	v_mul_f32_e32 v3, 0x5f7ffffc, v3
	v_mul_f32_e32 v4, 0x2f800000, v3
	v_trunc_f32_e32 v4, v4
	v_mac_f32_e32 v3, 0xcf800000, v4
	v_cvt_u32_f32_e32 v4, v4
	v_cvt_u32_f32_e32 v3, v3
	v_mul_lo_u32 v5, s0, v4
	v_mul_hi_u32 v9, s0, v3
	v_mul_lo_u32 v13, s1, v3
	v_mul_lo_u32 v12, s0, v3
	v_add_u32_e32 v5, v9, v5
	v_add_u32_e32 v5, v5, v13
	v_mul_hi_u32 v9, v3, v12
	v_mul_lo_u32 v13, v3, v5
	v_mul_hi_u32 v15, v3, v5
	v_mul_hi_u32 v14, v4, v12
	v_mul_lo_u32 v12, v4, v12
	v_mul_hi_u32 v16, v4, v5
	v_add_co_u32_e32 v9, vcc, v9, v13
	v_addc_co_u32_e32 v13, vcc, 0, v15, vcc
	v_mul_lo_u32 v5, v4, v5
	v_add_co_u32_e32 v9, vcc, v9, v12
	v_addc_co_u32_e32 v9, vcc, v13, v14, vcc
	v_addc_co_u32_e32 v12, vcc, 0, v16, vcc
	v_add_co_u32_e32 v5, vcc, v9, v5
	v_addc_co_u32_e32 v9, vcc, 0, v12, vcc
	v_add_co_u32_e32 v3, vcc, v3, v5
	v_addc_co_u32_e32 v4, vcc, v4, v9, vcc
	v_mul_lo_u32 v5, s0, v4
	v_mul_hi_u32 v9, s0, v3
	v_mul_lo_u32 v12, s1, v3
	v_mul_lo_u32 v13, s0, v3
	v_add_u32_e32 v5, v9, v5
	v_add_u32_e32 v5, v5, v12
	v_mul_lo_u32 v14, v3, v5
	v_mul_hi_u32 v15, v3, v13
	v_mul_hi_u32 v16, v3, v5
	v_mul_hi_u32 v12, v4, v13
	v_mul_lo_u32 v13, v4, v13
	v_mul_hi_u32 v9, v4, v5
	v_add_co_u32_e32 v14, vcc, v15, v14
	v_addc_co_u32_e32 v15, vcc, 0, v16, vcc
	v_mul_lo_u32 v5, v4, v5
	v_add_co_u32_e32 v13, vcc, v14, v13
	v_addc_co_u32_e32 v12, vcc, v15, v12, vcc
	v_addc_co_u32_e32 v9, vcc, 0, v9, vcc
	v_add_co_u32_e32 v5, vcc, v12, v5
	v_addc_co_u32_e32 v9, vcc, 0, v9, vcc
	v_add_co_u32_e32 v5, vcc, v3, v5
	v_addc_co_u32_e32 v9, vcc, v4, v9, vcc
	v_mad_u64_u32 v[3:4], s[0:1], v10, v9, 0
	v_mul_hi_u32 v12, v10, v5
	v_add_co_u32_e32 v14, vcc, v12, v3
	v_addc_co_u32_e32 v15, vcc, 0, v4, vcc
	v_mad_u64_u32 v[3:4], s[0:1], v11, v5, 0
	v_mad_u64_u32 v[12:13], s[0:1], v11, v9, 0
	v_add_co_u32_e32 v3, vcc, v14, v3
	v_addc_co_u32_e32 v3, vcc, v15, v4, vcc
	v_addc_co_u32_e32 v4, vcc, 0, v13, vcc
	v_add_co_u32_e32 v5, vcc, v3, v12
	v_addc_co_u32_e32 v9, vcc, 0, v4, vcc
	v_mul_lo_u32 v12, s25, v5
	v_mul_lo_u32 v13, s24, v9
	v_mad_u64_u32 v[3:4], s[0:1], s24, v5, 0
	v_add3_u32 v4, v4, v13, v12
	v_sub_u32_e32 v12, v11, v4
	v_mov_b32_e32 v13, s25
	v_sub_co_u32_e32 v3, vcc, v10, v3
	v_subb_co_u32_e64 v12, s[0:1], v12, v13, vcc
	v_subrev_co_u32_e64 v13, s[0:1], s24, v3
	v_subbrev_co_u32_e64 v12, s[0:1], 0, v12, s[0:1]
	v_cmp_le_u32_e64 s[0:1], s25, v12
	v_cndmask_b32_e64 v14, 0, -1, s[0:1]
	v_cmp_le_u32_e64 s[0:1], s24, v13
	v_cndmask_b32_e64 v13, 0, -1, s[0:1]
	v_cmp_eq_u32_e64 s[0:1], s25, v12
	v_cndmask_b32_e64 v12, v14, v13, s[0:1]
	v_add_co_u32_e64 v13, s[0:1], 2, v5
	v_addc_co_u32_e64 v14, s[0:1], 0, v9, s[0:1]
	v_add_co_u32_e64 v15, s[0:1], 1, v5
	v_addc_co_u32_e64 v16, s[0:1], 0, v9, s[0:1]
	v_subb_co_u32_e32 v4, vcc, v11, v4, vcc
	v_cmp_ne_u32_e64 s[0:1], 0, v12
	v_cmp_le_u32_e32 vcc, s25, v4
	v_cndmask_b32_e64 v12, v16, v14, s[0:1]
	v_cndmask_b32_e64 v14, 0, -1, vcc
	v_cmp_le_u32_e32 vcc, s24, v3
	v_cndmask_b32_e64 v3, 0, -1, vcc
	v_cmp_eq_u32_e32 vcc, s25, v4
	v_cndmask_b32_e32 v3, v14, v3, vcc
	v_cmp_ne_u32_e32 vcc, 0, v3
	v_cndmask_b32_e64 v3, v15, v13, s[0:1]
	v_cndmask_b32_e32 v4, v9, v12, vcc
	v_cndmask_b32_e32 v3, v5, v3, vcc
.LBB0_4:                                ;   in Loop: Header=BB0_2 Depth=1
	s_andn2_saveexec_b64 s[0:1], s[26:27]
	s_cbranch_execz .LBB0_6
; %bb.5:                                ;   in Loop: Header=BB0_2 Depth=1
	v_cvt_f32_u32_e32 v3, s24
	s_sub_i32 s26, 0, s24
	v_rcp_iflag_f32_e32 v3, v3
	v_mul_f32_e32 v3, 0x4f7ffffe, v3
	v_cvt_u32_f32_e32 v3, v3
	v_mul_lo_u32 v4, s26, v3
	v_mul_hi_u32 v4, v3, v4
	v_add_u32_e32 v3, v3, v4
	v_mul_hi_u32 v3, v10, v3
	v_mul_lo_u32 v4, v3, s24
	v_add_u32_e32 v5, 1, v3
	v_sub_u32_e32 v4, v10, v4
	v_subrev_u32_e32 v9, s24, v4
	v_cmp_le_u32_e32 vcc, s24, v4
	v_cndmask_b32_e32 v4, v4, v9, vcc
	v_cndmask_b32_e32 v3, v3, v5, vcc
	v_add_u32_e32 v5, 1, v3
	v_cmp_le_u32_e32 vcc, s24, v4
	v_cndmask_b32_e32 v3, v3, v5, vcc
	v_mov_b32_e32 v4, v8
.LBB0_6:                                ;   in Loop: Header=BB0_2 Depth=1
	s_or_b64 exec, exec, s[0:1]
	v_mul_lo_u32 v5, v4, s24
	v_mul_lo_u32 v9, v3, s25
	v_mad_u64_u32 v[12:13], s[0:1], v3, s24, 0
	s_load_dwordx2 s[0:1], s[6:7], 0x0
	s_load_dwordx2 s[24:25], s[2:3], 0x0
	v_add3_u32 v5, v13, v9, v5
	v_sub_co_u32_e32 v9, vcc, v10, v12
	v_subb_co_u32_e32 v5, vcc, v11, v5, vcc
	s_waitcnt lgkmcnt(0)
	v_mul_lo_u32 v10, s0, v5
	v_mul_lo_u32 v11, s1, v9
	v_mad_u64_u32 v[6:7], s[0:1], s0, v9, v[6:7]
	s_add_u32 s22, s22, 1
	s_addc_u32 s23, s23, 0
	s_add_u32 s2, s2, 8
	v_mul_lo_u32 v5, s24, v5
	v_mul_lo_u32 v12, s25, v9
	v_mad_u64_u32 v[1:2], s[0:1], s24, v9, v[1:2]
	v_add3_u32 v7, v11, v7, v10
	s_addc_u32 s3, s3, 0
	v_mov_b32_e32 v9, s14
	s_add_u32 s6, s6, 8
	v_mov_b32_e32 v10, s15
	s_addc_u32 s7, s7, 0
	v_cmp_ge_u64_e32 vcc, s[22:23], v[9:10]
	s_add_u32 s20, s20, 8
	v_add3_u32 v2, v12, v2, v5
	s_addc_u32 s21, s21, 0
	s_cbranch_vccnz .LBB0_9
; %bb.7:                                ;   in Loop: Header=BB0_2 Depth=1
	v_mov_b32_e32 v11, v4
	v_mov_b32_e32 v10, v3
	s_branch .LBB0_2
.LBB0_8:
	v_mov_b32_e32 v1, v6
	v_mov_b32_e32 v3, v10
	;; [unrolled: 1-line block ×4, first 2 shown]
.LBB0_9:
	s_load_dwordx2 s[4:5], s[4:5], 0x28
	s_lshl_b64 s[6:7], s[14:15], 3
	s_add_u32 s2, s18, s6
	s_addc_u32 s3, s19, s7
                                        ; implicit-def: $vgpr5
	s_waitcnt lgkmcnt(0)
	v_cmp_gt_u64_e64 s[0:1], s[4:5], v[3:4]
	v_cmp_le_u64_e32 vcc, s[4:5], v[3:4]
	s_and_saveexec_b64 s[4:5], vcc
	s_xor_b64 s[4:5], exec, s[4:5]
; %bb.10:
	s_mov_b32 s14, 0x10624de
	v_mul_hi_u32 v5, v0, s14
                                        ; implicit-def: $vgpr6_vgpr7
	v_mul_u32_u24_e32 v5, 0xfa, v5
	v_sub_u32_e32 v5, v0, v5
                                        ; implicit-def: $vgpr0
; %bb.11:
	s_or_saveexec_b64 s[4:5], s[4:5]
	s_load_dwordx2 s[2:3], s[2:3], 0x0
	s_xor_b64 exec, exec, s[4:5]
	s_cbranch_execz .LBB0_15
; %bb.12:
	s_add_u32 s6, s16, s6
	s_addc_u32 s7, s17, s7
	s_load_dwordx2 s[6:7], s[6:7], 0x0
	s_mov_b32 s14, 0x10624de
	v_mul_hi_u32 v5, v0, s14
	v_lshlrev_b64 v[6:7], 3, v[6:7]
	s_waitcnt lgkmcnt(0)
	v_mul_lo_u32 v10, s7, v3
	v_mul_lo_u32 v11, s6, v4
	v_mad_u64_u32 v[8:9], s[6:7], s6, v3, 0
	v_mul_u32_u24_e32 v5, 0xfa, v5
	v_sub_u32_e32 v5, v0, v5
	v_add3_u32 v9, v9, v11, v10
	v_lshlrev_b64 v[8:9], 3, v[8:9]
	v_mov_b32_e32 v0, s9
	v_add_co_u32_e32 v8, vcc, s8, v8
	v_addc_co_u32_e32 v0, vcc, v0, v9, vcc
	v_add_co_u32_e32 v6, vcc, v8, v6
	v_addc_co_u32_e32 v0, vcc, v0, v7, vcc
	v_lshlrev_b32_e32 v33, 3, v5
	v_add_co_u32_e32 v7, vcc, v6, v33
	v_addc_co_u32_e32 v8, vcc, 0, v0, vcc
	s_movk_i32 s6, 0x1000
	v_add_co_u32_e32 v9, vcc, s6, v7
	v_addc_co_u32_e32 v10, vcc, 0, v8, vcc
	s_movk_i32 s6, 0x2000
	;; [unrolled: 3-line block ×3, first 2 shown]
	v_add_co_u32_e32 v15, vcc, s6, v7
	v_addc_co_u32_e32 v16, vcc, 0, v8, vcc
	global_load_dwordx2 v[11:12], v[9:10], off offset:1904
	global_load_dwordx2 v[17:18], v[9:10], off offset:3904
	;; [unrolled: 1-line block ×5, first 2 shown]
	v_add_co_u32_e32 v9, vcc, 0x4000, v7
	v_addc_co_u32_e32 v10, vcc, 0, v8, vcc
	global_load_dwordx2 v[13:14], v[7:8], off offset:4000
	global_load_dwordx2 v[25:26], v[7:8], off
	global_load_dwordx2 v[27:28], v[7:8], off offset:2000
	global_load_dwordx2 v[29:30], v[15:16], off offset:3712
	;; [unrolled: 1-line block ×3, first 2 shown]
	s_movk_i32 s6, 0xf9
	v_add_u32_e32 v7, 0, v33
	v_add_u32_e32 v8, 0xf80, v7
	v_cmp_eq_u32_e32 vcc, s6, v5
	v_add_u32_e32 v9, 0x1f40, v7
	v_add_u32_e32 v10, 0x2ec0, v7
	;; [unrolled: 1-line block ×3, first 2 shown]
	s_waitcnt vmcnt(4)
	ds_write2_b64 v8, v[13:14], v[11:12] offset0:4 offset1:254
	ds_write2_b64 v9, v[17:18], v[19:20] offset1:250
	s_waitcnt vmcnt(2)
	ds_write2_b64 v7, v[25:26], v[27:28] offset1:250
	ds_write2_b64 v10, v[21:22], v[23:24] offset0:4 offset1:254
	s_waitcnt vmcnt(0)
	ds_write2_b64 v15, v[29:30], v[31:32] offset1:250
	s_and_saveexec_b64 s[6:7], vcc
	s_cbranch_execz .LBB0_14
; %bb.13:
	v_add_co_u32_e32 v5, vcc, 0x4000, v6
	v_addc_co_u32_e32 v6, vcc, 0, v0, vcc
	global_load_dwordx2 v[5:6], v[5:6], off offset:3616
	v_mov_b32_e32 v0, 0
	s_waitcnt vmcnt(0)
	ds_write_b64 v0, v[5:6] offset:20000
	v_mov_b32_e32 v5, 0xf9
.LBB0_14:
	s_or_b64 exec, exec, s[6:7]
.LBB0_15:
	s_or_b64 exec, exec, s[4:5]
	v_lshlrev_b32_e32 v6, 3, v5
	v_add_u32_e32 v0, 0, v6
	s_waitcnt lgkmcnt(0)
	s_barrier
	v_sub_u32_e32 v11, 0, v6
	ds_read_b32 v12, v0
	ds_read_b32 v13, v11 offset:20000
	s_add_u32 s6, s12, 0x4dd0
	s_addc_u32 s7, s13, 0
	v_cmp_ne_u32_e32 vcc, 0, v5
                                        ; implicit-def: $vgpr9_vgpr10
	s_waitcnt lgkmcnt(0)
	v_add_f32_e32 v7, v13, v12
	v_sub_f32_e32 v8, v12, v13
	s_and_saveexec_b64 s[4:5], vcc
	s_xor_b64 s[4:5], exec, s[4:5]
	s_cbranch_execz .LBB0_17
; %bb.16:
	v_mov_b32_e32 v6, 0
	v_lshlrev_b64 v[7:8], 3, v[5:6]
	v_mov_b32_e32 v9, s7
	v_add_co_u32_e32 v7, vcc, s6, v7
	v_addc_co_u32_e32 v8, vcc, v9, v8, vcc
	global_load_dwordx2 v[9:10], v[7:8], off
	ds_read_b32 v7, v11 offset:20004
	ds_read_b32 v8, v0 offset:4
	v_add_f32_e32 v14, v13, v12
	v_sub_f32_e32 v15, v12, v13
	s_waitcnt lgkmcnt(0)
	v_add_f32_e32 v16, v7, v8
	v_sub_f32_e32 v7, v8, v7
	s_waitcnt vmcnt(0)
	v_fma_f32 v17, v15, v10, v14
	v_fma_f32 v8, v16, v10, v7
	v_fma_f32 v12, -v15, v10, v14
	v_fma_f32 v13, v16, v10, -v7
	v_fma_f32 v7, -v9, v16, v17
	v_fmac_f32_e32 v8, v15, v9
	v_fmac_f32_e32 v12, v9, v16
	;; [unrolled: 1-line block ×3, first 2 shown]
	v_mov_b32_e32 v10, v6
	ds_write_b64 v11, v[12:13] offset:20000
	v_mov_b32_e32 v9, v5
.LBB0_17:
	s_andn2_saveexec_b64 s[4:5], s[4:5]
	s_cbranch_execz .LBB0_19
; %bb.18:
	v_mov_b32_e32 v6, 0
	ds_read_b64 v[9:10], v6 offset:10000
	s_waitcnt lgkmcnt(0)
	v_add_f32_e32 v12, v9, v9
	v_mul_f32_e32 v13, -2.0, v10
	v_mov_b32_e32 v9, 0
	v_mov_b32_e32 v10, 0
	ds_write_b64 v6, v[12:13] offset:10000
.LBB0_19:
	s_or_b64 exec, exec, s[4:5]
	v_lshlrev_b64 v[9:10], 3, v[9:10]
	v_mov_b32_e32 v6, s7
	v_add_co_u32_e32 v9, vcc, s6, v9
	v_addc_co_u32_e32 v10, vcc, v6, v10, vcc
	global_load_dwordx2 v[12:13], v[9:10], off offset:2000
	global_load_dwordx2 v[14:15], v[9:10], off offset:4000
	s_movk_i32 s4, 0x1000
	v_add_co_u32_e32 v9, vcc, s4, v9
	v_addc_co_u32_e32 v10, vcc, 0, v10, vcc
	global_load_dwordx2 v[16:17], v[9:10], off offset:1904
	global_load_dwordx2 v[18:19], v[9:10], off offset:3904
	ds_write_b64 v0, v[7:8]
	ds_read_b64 v[6:7], v0 offset:2000
	ds_read_b64 v[8:9], v11 offset:18000
	s_movk_i32 s4, 0x48
	v_mad_u32_u24 v54, v5, s4, v0
	s_mov_b32 s4, 0x3f737871
	s_mov_b32 s5, 0xbf737871
	s_waitcnt lgkmcnt(0)
	v_add_f32_e32 v10, v6, v8
	v_add_f32_e32 v20, v9, v7
	v_sub_f32_e32 v21, v6, v8
	v_sub_f32_e32 v6, v7, v9
	s_mov_b32 s7, 0x3f167918
	s_mov_b32 s6, 0xbf167918
	s_movk_i32 s8, 0xcd
	s_waitcnt vmcnt(3)
	v_fma_f32 v22, v21, v13, v10
	v_fma_f32 v7, v20, v13, v6
	v_fma_f32 v8, -v21, v13, v10
	v_fma_f32 v9, v20, v13, -v6
	v_fma_f32 v6, -v12, v20, v22
	v_fmac_f32_e32 v7, v21, v12
	v_fmac_f32_e32 v8, v12, v20
	;; [unrolled: 1-line block ×3, first 2 shown]
	ds_write_b64 v0, v[6:7] offset:2000
	ds_write_b64 v11, v[8:9] offset:18000
	ds_read_b64 v[6:7], v0 offset:4000
	ds_read_b64 v[8:9], v11 offset:16000
	s_waitcnt lgkmcnt(0)
	v_add_f32_e32 v10, v6, v8
	v_add_f32_e32 v12, v9, v7
	v_sub_f32_e32 v13, v6, v8
	v_sub_f32_e32 v6, v7, v9
	s_waitcnt vmcnt(2)
	v_fma_f32 v20, v13, v15, v10
	v_fma_f32 v7, v12, v15, v6
	v_fma_f32 v8, -v13, v15, v10
	v_fma_f32 v9, v12, v15, -v6
	v_fma_f32 v6, -v14, v12, v20
	v_fmac_f32_e32 v7, v13, v14
	v_fmac_f32_e32 v8, v14, v12
	;; [unrolled: 1-line block ×3, first 2 shown]
	ds_write_b64 v0, v[6:7] offset:4000
	ds_write_b64 v11, v[8:9] offset:16000
	ds_read_b64 v[6:7], v0 offset:6000
	ds_read_b64 v[8:9], v11 offset:14000
	s_waitcnt lgkmcnt(0)
	v_add_f32_e32 v10, v6, v8
	v_add_f32_e32 v12, v9, v7
	v_sub_f32_e32 v13, v6, v8
	v_sub_f32_e32 v6, v7, v9
	s_waitcnt vmcnt(1)
	v_fma_f32 v14, v13, v17, v10
	v_fma_f32 v7, v12, v17, v6
	v_fma_f32 v8, -v13, v17, v10
	v_fma_f32 v9, v12, v17, -v6
	v_fma_f32 v6, -v16, v12, v14
	v_fmac_f32_e32 v7, v13, v16
	v_fmac_f32_e32 v8, v16, v12
	;; [unrolled: 1-line block ×3, first 2 shown]
	ds_write_b64 v0, v[6:7] offset:6000
	ds_write_b64 v11, v[8:9] offset:14000
	ds_read_b64 v[6:7], v0 offset:8000
	ds_read_b64 v[12:13], v11 offset:12000
	v_add_u32_e32 v9, 0xf80, v0
	v_add_u32_e32 v8, 0x1f40, v0
	;; [unrolled: 1-line block ×3, first 2 shown]
	s_waitcnt lgkmcnt(0)
	v_add_f32_e32 v14, v6, v12
	v_add_f32_e32 v15, v13, v7
	v_sub_f32_e32 v16, v6, v12
	v_sub_f32_e32 v6, v7, v13
	s_waitcnt vmcnt(0)
	v_fma_f32 v17, v16, v19, v14
	v_fma_f32 v7, v15, v19, v6
	v_fma_f32 v12, -v16, v19, v14
	v_fma_f32 v13, v15, v19, -v6
	v_fma_f32 v6, -v18, v15, v17
	v_fmac_f32_e32 v7, v16, v18
	v_fmac_f32_e32 v12, v18, v15
	;; [unrolled: 1-line block ×3, first 2 shown]
	ds_write_b64 v0, v[6:7] offset:8000
	ds_write_b64 v11, v[12:13] offset:12000
	s_waitcnt lgkmcnt(0)
	s_barrier
	s_barrier
	ds_read2_b64 v[12:15], v0 offset1:250
	ds_read2_b64 v[16:19], v9 offset0:4 offset1:254
	v_add_u32_e32 v11, 0x3e80, v0
	ds_read2_b64 v[20:23], v8 offset1:250
	ds_read2_b64 v[24:27], v10 offset0:4 offset1:254
	ds_read2_b64 v[28:31], v11 offset1:250
	s_waitcnt lgkmcnt(0)
	s_barrier
	v_add_f32_e32 v6, v12, v16
	v_add_f32_e32 v32, v14, v18
	;; [unrolled: 1-line block ×5, first 2 shown]
	v_sub_f32_e32 v36, v16, v20
	v_sub_f32_e32 v37, v20, v16
	;; [unrolled: 1-line block ×3, first 2 shown]
	v_add_f32_e32 v42, v22, v26
	v_add_f32_e32 v6, v6, v20
	;; [unrolled: 1-line block ×3, first 2 shown]
	v_sub_f32_e32 v35, v21, v25
	v_add_f32_e32 v38, v21, v25
	v_sub_f32_e32 v40, v17, v21
	v_sub_f32_e32 v41, v21, v17
	;; [unrolled: 1-line block ×4, first 2 shown]
	v_add_f32_e32 v46, v23, v27
	v_sub_f32_e32 v48, v19, v23
	v_sub_f32_e32 v49, v23, v19
	v_add_f32_e32 v7, v7, v21
	v_add_f32_e32 v21, v33, v23
	;; [unrolled: 1-line block ×3, first 2 shown]
	v_sub_f32_e32 v32, v16, v28
	v_add_f32_e32 v6, v6, v24
	v_add_f32_e32 v16, v20, v26
	v_sub_f32_e32 v20, v28, v24
	v_sub_f32_e32 v52, v30, v26
	v_fma_f32 v42, -0.5, v42, v14
	v_sub_f32_e32 v45, v22, v18
	v_sub_f32_e32 v47, v22, v26
	;; [unrolled: 1-line block ×3, first 2 shown]
	v_add_f32_e32 v33, v17, v29
	v_sub_f32_e32 v50, v19, v31
	v_add_f32_e32 v7, v7, v25
	v_add_f32_e32 v17, v21, v27
	v_sub_f32_e32 v21, v24, v28
	v_add_f32_e32 v28, v6, v28
	v_add_f32_e32 v20, v36, v20
	;; [unrolled: 1-line block ×3, first 2 shown]
	v_mov_b32_e32 v6, v42
	v_fma_f32 v44, -0.5, v46, v15
	v_add_f32_e32 v51, v18, v30
	v_sub_f32_e32 v18, v18, v30
	v_sub_f32_e32 v24, v29, v25
	v_sub_f32_e32 v25, v25, v29
	v_sub_f32_e32 v53, v31, v27
	v_add_f32_e32 v29, v7, v29
	v_fmac_f32_e32 v6, 0x3f737871, v50
	v_mov_b32_e32 v7, v44
	v_fma_f32 v34, -0.5, v34, v12
	v_fma_f32 v38, -0.5, v38, v13
	v_add_f32_e32 v24, v40, v24
	v_add_f32_e32 v40, v48, v53
	v_fmac_f32_e32 v6, 0x3f167918, v43
	v_fmac_f32_e32 v7, 0xbf737871, v18
	v_mov_b32_e32 v52, v34
	v_mov_b32_e32 v53, v38
	v_fmac_f32_e32 v6, 0x3e9e377a, v36
	v_fmac_f32_e32 v7, 0xbf167918, v47
	;; [unrolled: 1-line block ×5, first 2 shown]
	v_mul_f32_e32 v46, 0x3f4f1bbd, v6
	v_mul_f32_e32 v48, 0xbf167918, v6
	v_fmac_f32_e32 v52, 0x3f167918, v35
	v_fmac_f32_e32 v53, 0xbf167918, v39
	v_add_f32_e32 v19, v19, v31
	v_sub_f32_e32 v26, v26, v30
	v_sub_f32_e32 v27, v27, v31
	v_add_f32_e32 v30, v16, v30
	v_add_f32_e32 v31, v17, v31
	v_fmac_f32_e32 v46, 0x3f167918, v7
	v_fmac_f32_e32 v48, 0x3f4f1bbd, v7
	;; [unrolled: 1-line block ×4, first 2 shown]
	v_add_f32_e32 v6, v28, v30
	v_add_f32_e32 v7, v29, v31
	;; [unrolled: 1-line block ×4, first 2 shown]
	ds_write2_b64 v54, v[6:7], v[16:17] offset1:1
	v_fma_f32 v16, -0.5, v23, v12
	v_mov_b32_e32 v23, v16
	v_fmac_f32_e32 v15, -0.5, v19
	v_fma_f32 v12, -0.5, v51, v14
	v_fmac_f32_e32 v23, 0xbf737871, v35
	v_fmac_f32_e32 v16, 0x3f737871, v35
	v_fma_f32 v17, -0.5, v33, v13
	v_mov_b32_e32 v13, v12
	v_fmac_f32_e32 v12, 0x3f737871, v43
	v_mov_b32_e32 v14, v15
	v_add_f32_e32 v21, v37, v21
	v_fmac_f32_e32 v23, 0x3f167918, v22
	v_fmac_f32_e32 v16, 0xbf167918, v22
	v_add_f32_e32 v6, v45, v26
	v_fmac_f32_e32 v12, 0xbf167918, v50
	v_fmac_f32_e32 v15, 0xbf737871, v47
	;; [unrolled: 1-line block ×4, first 2 shown]
	v_add_f32_e32 v21, v41, v25
	v_mov_b32_e32 v25, v17
	v_fmac_f32_e32 v13, 0xbf737871, v43
	v_fmac_f32_e32 v14, 0x3f737871, v47
	;; [unrolled: 1-line block ×3, first 2 shown]
	v_add_f32_e32 v7, v49, v27
	v_fmac_f32_e32 v12, 0x3e9e377a, v6
	v_fmac_f32_e32 v15, 0x3f167918, v18
	;; [unrolled: 1-line block ×9, first 2 shown]
	v_mul_f32_e32 v19, 0x3e9e377a, v12
	v_fmac_f32_e32 v25, 0xbf167918, v32
	v_fmac_f32_e32 v17, 0x3f167918, v32
	;; [unrolled: 1-line block ×7, first 2 shown]
	v_fma_f32 v19, v15, s4, -v19
	v_mul_f32_e32 v15, 0x3e9e377a, v15
	v_fmac_f32_e32 v25, 0x3e9e377a, v21
	v_fmac_f32_e32 v17, 0x3e9e377a, v21
	v_mul_f32_e32 v21, 0x3f737871, v14
	v_mul_f32_e32 v26, 0xbf737871, v13
	v_fmac_f32_e32 v34, 0xbf167918, v35
	v_fmac_f32_e32 v38, 0x3f737871, v32
	;; [unrolled: 1-line block ×3, first 2 shown]
	v_mul_f32_e32 v18, 0x3f4f1bbd, v42
	v_fmac_f32_e32 v21, 0x3e9e377a, v13
	v_fmac_f32_e32 v26, 0x3e9e377a, v14
	v_fma_f32 v27, v12, s5, -v15
	v_fmac_f32_e32 v34, 0x3e9e377a, v20
	v_fmac_f32_e32 v38, 0x3f167918, v39
	v_fma_f32 v20, v44, s7, -v18
	v_mul_f32_e32 v18, 0x3f4f1bbd, v44
	v_add_f32_e32 v6, v23, v21
	v_add_f32_e32 v7, v25, v26
	;; [unrolled: 1-line block ×4, first 2 shown]
	v_sub_f32_e32 v14, v23, v21
	v_fmac_f32_e32 v38, 0x3e9e377a, v24
	v_fma_f32 v21, v42, s6, -v18
	ds_write2_b64 v54, v[6:7], v[12:13] offset0:2 offset1:3
	v_sub_f32_e32 v6, v28, v30
	v_sub_f32_e32 v7, v29, v31
	;; [unrolled: 1-line block ×3, first 2 shown]
	v_add_f32_e32 v18, v34, v20
	v_add_f32_e32 v19, v38, v21
	v_sub_f32_e32 v12, v52, v46
	v_sub_f32_e32 v13, v53, v48
	;; [unrolled: 1-line block ×6, first 2 shown]
	ds_write2_b64 v54, v[18:19], v[6:7] offset0:4 offset1:5
	ds_write2_b64 v54, v[12:13], v[14:15] offset0:6 offset1:7
	;; [unrolled: 1-line block ×3, first 2 shown]
	v_mul_lo_u16_sdwa v6, v5, s8 dst_sel:DWORD dst_unused:UNUSED_PAD src0_sel:BYTE_0 src1_sel:DWORD
	v_lshrrev_b16_e32 v6, 11, v6
	v_mul_lo_u16_e32 v7, 10, v6
	v_sub_u16_e32 v7, v5, v7
	v_mov_b32_e32 v12, 5
	v_lshlrev_b32_sdwa v29, v12, v7 dst_sel:DWORD dst_unused:UNUSED_PAD src0_sel:DWORD src1_sel:BYTE_0
	s_mov_b32 s8, 0xcccd
	v_add_u32_e32 v12, 0xfa, v5
	s_waitcnt lgkmcnt(0)
	s_barrier
	global_load_dwordx4 v[13:16], v29, s[12:13]
	v_mul_u32_u24_sdwa v17, v12, s8 dst_sel:DWORD dst_unused:UNUSED_PAD src0_sel:WORD_0 src1_sel:DWORD
	v_lshrrev_b32_e32 v37, 19, v17
	v_mul_lo_u16_e32 v17, 10, v37
	v_sub_u16_e32 v38, v12, v17
	v_lshlrev_b32_e32 v30, 5, v38
	global_load_dwordx4 v[17:20], v30, s[12:13]
	global_load_dwordx4 v[21:24], v29, s[12:13] offset:16
	global_load_dwordx4 v[25:28], v30, s[12:13] offset:16
	ds_read2_b64 v[29:32], v9 offset0:4 offset1:254
	ds_read2_b64 v[33:36], v8 offset1:250
	s_waitcnt vmcnt(3) lgkmcnt(1)
	v_mul_f32_e32 v39, v14, v30
	v_fma_f32 v39, v13, v29, -v39
	v_mul_f32_e32 v29, v14, v29
	v_fmac_f32_e32 v29, v13, v30
	s_waitcnt lgkmcnt(0)
	v_mul_f32_e32 v13, v16, v34
	v_fma_f32 v30, v15, v33, -v13
	v_mul_f32_e32 v33, v16, v33
	s_waitcnt vmcnt(2)
	v_mul_f32_e32 v13, v18, v32
	v_fmac_f32_e32 v33, v15, v34
	v_fma_f32 v34, v17, v31, -v13
	v_mul_f32_e32 v31, v18, v31
	v_fmac_f32_e32 v31, v17, v32
	v_mul_f32_e32 v17, v36, v20
	ds_read2_b64 v[13:16], v10 offset0:4 offset1:254
	v_fma_f32 v32, v35, v19, -v17
	v_mul_f32_e32 v35, v35, v20
	v_fmac_f32_e32 v35, v36, v19
	ds_read2_b64 v[17:20], v11 offset1:250
	s_waitcnt vmcnt(1) lgkmcnt(1)
	v_mul_f32_e32 v36, v22, v14
	v_fma_f32 v36, v21, v13, -v36
	v_mul_f32_e32 v40, v22, v13
	v_fmac_f32_e32 v40, v21, v14
	s_waitcnt lgkmcnt(0)
	v_mul_f32_e32 v13, v24, v18
	v_fma_f32 v41, v23, v17, -v13
	v_mul_f32_e32 v24, v24, v17
	s_waitcnt vmcnt(0)
	v_mul_f32_e32 v13, v16, v26
	v_fmac_f32_e32 v24, v23, v18
	v_fma_f32 v23, v15, v25, -v13
	v_mul_f32_e32 v26, v15, v26
	v_mul_f32_e32 v13, v20, v28
	v_fmac_f32_e32 v26, v16, v25
	v_fma_f32 v25, v19, v27, -v13
	ds_read2_b64 v[13:16], v0 offset1:250
	v_mul_f32_e32 v28, v19, v28
	v_sub_f32_e32 v21, v29, v33
	v_sub_f32_e32 v22, v24, v40
	v_fmac_f32_e32 v28, v20, v27
	v_add_f32_e32 v19, v30, v36
	v_add_f32_e32 v20, v33, v40
	;; [unrolled: 1-line block ×3, first 2 shown]
	v_mul_u32_u24_e32 v21, 0x190, v6
	v_mov_b32_e32 v6, 3
	v_sub_f32_e32 v17, v39, v30
	v_sub_f32_e32 v18, v41, v36
	s_waitcnt lgkmcnt(0)
	v_fma_f32 v19, -0.5, v19, v13
	v_fma_f32 v20, -0.5, v20, v14
	v_lshlrev_b32_sdwa v7, v6, v7 dst_sel:DWORD dst_unused:UNUSED_PAD src0_sel:DWORD src1_sel:BYTE_0
	v_add_f32_e32 v27, v17, v18
	v_add_f32_e32 v17, v13, v39
	;; [unrolled: 1-line block ×3, first 2 shown]
	v_add3_u32 v7, 0, v21, v7
	v_sub_f32_e32 v43, v29, v24
	v_mov_b32_e32 v21, v19
	v_mov_b32_e32 v22, v20
	v_sub_f32_e32 v45, v39, v41
	v_add_f32_e32 v17, v17, v30
	v_add_f32_e32 v18, v18, v33
	v_fmac_f32_e32 v21, 0x3f737871, v43
	v_sub_f32_e32 v44, v33, v40
	v_fmac_f32_e32 v22, 0xbf737871, v45
	v_sub_f32_e32 v46, v30, v36
	v_add_f32_e32 v17, v17, v36
	v_add_f32_e32 v18, v18, v40
	v_fmac_f32_e32 v21, 0x3f167918, v44
	v_fmac_f32_e32 v22, 0xbf167918, v46
	v_add_f32_e32 v17, v17, v41
	v_add_f32_e32 v18, v18, v24
	v_fmac_f32_e32 v21, 0x3e9e377a, v27
	v_fmac_f32_e32 v22, 0x3e9e377a, v42
	s_barrier
	ds_write2_b64 v7, v[17:18], v[21:22] offset1:10
	v_add_f32_e32 v18, v39, v41
	v_sub_f32_e32 v17, v30, v39
	v_sub_f32_e32 v21, v36, v41
	v_fma_f32 v13, -0.5, v18, v13
	v_add_f32_e32 v21, v17, v21
	v_mov_b32_e32 v17, v13
	v_fmac_f32_e32 v17, 0xbf737871, v44
	v_fmac_f32_e32 v13, 0x3f737871, v44
	;; [unrolled: 1-line block ×4, first 2 shown]
	v_add_f32_e32 v18, v29, v24
	v_fmac_f32_e32 v17, 0x3e9e377a, v21
	v_fmac_f32_e32 v13, 0x3e9e377a, v21
	v_fma_f32 v14, -0.5, v18, v14
	v_sub_f32_e32 v18, v33, v29
	v_sub_f32_e32 v21, v40, v24
	v_add_f32_e32 v21, v18, v21
	v_mov_b32_e32 v18, v14
	v_fmac_f32_e32 v18, 0x3f737871, v46
	v_fmac_f32_e32 v14, 0xbf737871, v46
	;; [unrolled: 1-line block ×12, first 2 shown]
	ds_write2_b64 v7, v[17:18], v[13:14] offset0:20 offset1:30
	ds_write_b64 v7, v[19:20] offset:320
	v_add_f32_e32 v17, v32, v23
	v_add_f32_e32 v18, v35, v26
	v_sub_f32_e32 v19, v31, v35
	v_sub_f32_e32 v20, v28, v26
	;; [unrolled: 1-line block ×4, first 2 shown]
	v_fma_f32 v17, -0.5, v17, v15
	v_fma_f32 v18, -0.5, v18, v16
	v_add_f32_e32 v21, v19, v20
	v_mul_u32_u24_e32 v19, 0x190, v37
	v_lshlrev_b32_e32 v20, 3, v38
	v_add_f32_e32 v7, v7, v13
	v_add_f32_e32 v13, v15, v34
	;; [unrolled: 1-line block ×3, first 2 shown]
	v_add3_u32 v22, 0, v19, v20
	v_sub_f32_e32 v24, v31, v28
	v_mov_b32_e32 v19, v17
	v_mov_b32_e32 v20, v18
	v_sub_f32_e32 v29, v34, v25
	v_add_f32_e32 v13, v13, v32
	v_add_f32_e32 v14, v14, v35
	v_fmac_f32_e32 v19, 0x3f737871, v24
	v_sub_f32_e32 v27, v35, v26
	v_fmac_f32_e32 v20, 0xbf737871, v29
	v_sub_f32_e32 v30, v32, v23
	v_fmac_f32_e32 v17, 0xbf737871, v24
	v_add_f32_e32 v13, v13, v23
	v_add_f32_e32 v14, v14, v26
	v_fmac_f32_e32 v19, 0x3f167918, v27
	v_fmac_f32_e32 v20, 0xbf167918, v30
	;; [unrolled: 1-line block ×3, first 2 shown]
	v_add_f32_e32 v13, v13, v25
	v_add_f32_e32 v14, v14, v28
	v_fmac_f32_e32 v19, 0x3e9e377a, v7
	v_fmac_f32_e32 v20, 0x3e9e377a, v21
	;; [unrolled: 1-line block ×3, first 2 shown]
	v_add_f32_e32 v7, v34, v25
	ds_write2_b64 v22, v[13:14], v[19:20] offset1:10
	v_fma_f32 v15, -0.5, v7, v15
	v_sub_f32_e32 v7, v32, v34
	v_sub_f32_e32 v13, v23, v25
	v_add_f32_e32 v7, v7, v13
	v_mov_b32_e32 v13, v15
	v_fmac_f32_e32 v13, 0xbf737871, v27
	v_fmac_f32_e32 v15, 0x3f737871, v27
	;; [unrolled: 1-line block ×6, first 2 shown]
	v_add_f32_e32 v7, v31, v28
	v_fmac_f32_e32 v16, -0.5, v7
	v_sub_f32_e32 v7, v35, v31
	v_sub_f32_e32 v14, v26, v28
	v_add_f32_e32 v7, v7, v14
	v_mov_b32_e32 v14, v16
	v_fmac_f32_e32 v14, 0x3f737871, v30
	v_fmac_f32_e32 v16, 0xbf737871, v30
	;; [unrolled: 1-line block ×6, first 2 shown]
	v_mov_b32_e32 v7, 41
	v_fmac_f32_e32 v18, 0x3f737871, v29
	v_mul_lo_u16_sdwa v7, v5, v7 dst_sel:DWORD dst_unused:UNUSED_PAD src0_sel:BYTE_0 src1_sel:DWORD
	v_fmac_f32_e32 v18, 0x3f167918, v30
	v_lshrrev_b16_e32 v7, 11, v7
	v_fmac_f32_e32 v18, 0x3e9e377a, v21
	ds_write2_b64 v22, v[13:14], v[15:16] offset0:20 offset1:30
	ds_write_b64 v22, v[17:18] offset:320
	v_mul_lo_u16_e32 v13, 50, v7
	v_sub_u16_e32 v35, v5, v13
	v_mov_b32_e32 v13, 9
	v_mul_u32_u24_sdwa v13, v35, v13 dst_sel:DWORD dst_unused:UNUSED_PAD src0_sel:BYTE_0 src1_sel:DWORD
	v_lshlrev_b32_e32 v29, 3, v13
	s_waitcnt lgkmcnt(0)
	s_barrier
	global_load_dwordx2 v[33:34], v29, s[12:13] offset:384
	global_load_dwordx4 v[13:16], v29, s[12:13] offset:368
	global_load_dwordx4 v[17:20], v29, s[12:13] offset:352
	;; [unrolled: 1-line block ×4, first 2 shown]
	ds_read2_b64 v[29:32], v11 offset1:250
	v_lshlrev_b32_sdwa v6, v6, v35 dst_sel:DWORD dst_unused:UNUSED_PAD src0_sel:DWORD src1_sel:BYTE_0
	v_mul_u32_u24_e32 v7, 0xfa0, v7
	v_add3_u32 v35, 0, v7, v6
	s_waitcnt vmcnt(4) lgkmcnt(0)
	v_mul_f32_e32 v36, v32, v34
	v_mul_f32_e32 v37, v31, v34
	v_fma_f32 v36, v31, v33, -v36
	v_fmac_f32_e32 v37, v32, v33
	ds_read2_b64 v[31:34], v10 offset0:4 offset1:254
	s_waitcnt vmcnt(3)
	v_mul_f32_e32 v38, v30, v16
	v_fma_f32 v38, v29, v15, -v38
	v_mul_f32_e32 v29, v29, v16
	v_fmac_f32_e32 v29, v30, v15
	s_waitcnt lgkmcnt(0)
	v_mul_f32_e32 v15, v34, v14
	v_fma_f32 v30, v33, v13, -v15
	v_mul_f32_e32 v33, v33, v14
	v_fmac_f32_e32 v33, v34, v13
	ds_read2_b64 v[13:16], v8 offset1:250
	s_waitcnt vmcnt(2)
	v_mul_f32_e32 v34, v32, v20
	v_fma_f32 v34, v31, v19, -v34
	v_mul_f32_e32 v31, v31, v20
	v_fmac_f32_e32 v31, v32, v19
	s_waitcnt lgkmcnt(0)
	v_mul_f32_e32 v19, v18, v16
	v_mul_f32_e32 v39, v18, v15
	v_fma_f32 v32, v17, v15, -v19
	v_fmac_f32_e32 v39, v17, v16
	ds_read2_b64 v[15:18], v9 offset0:4 offset1:254
	s_waitcnt vmcnt(1)
	v_mul_f32_e32 v19, v24, v14
	v_fma_f32 v40, v23, v13, -v19
	v_mul_f32_e32 v24, v24, v13
	v_fmac_f32_e32 v24, v23, v14
	s_waitcnt lgkmcnt(0)
	v_mul_f32_e32 v13, v22, v18
	v_mul_f32_e32 v22, v22, v17
	v_fma_f32 v23, v21, v17, -v13
	v_fmac_f32_e32 v22, v21, v18
	ds_read2_b64 v[17:20], v0 offset1:250
	s_waitcnt vmcnt(0)
	v_mul_f32_e32 v13, v28, v16
	v_fma_f32 v21, v27, v15, -v13
	v_mul_f32_e32 v15, v28, v15
	v_fmac_f32_e32 v15, v27, v16
	s_waitcnt lgkmcnt(0)
	v_mul_f32_e32 v13, v26, v20
	v_fma_f32 v16, v25, v19, -v13
	v_mul_f32_e32 v19, v26, v19
	v_add_f32_e32 v13, v40, v34
	v_fmac_f32_e32 v19, v25, v20
	v_fma_f32 v20, -0.5, v13, v17
	v_add_f32_e32 v13, v21, v38
	v_fma_f32 v25, -0.5, v13, v17
	v_add_f32_e32 v13, v24, v31
	v_fma_f32 v26, -0.5, v13, v18
	v_add_f32_e32 v13, v15, v29
	v_fma_f32 v27, -0.5, v13, v18
	v_add_f32_e32 v13, v17, v21
	v_add_f32_e32 v14, v18, v15
	v_sub_f32_e32 v17, v21, v40
	v_sub_f32_e32 v18, v38, v34
	v_add_f32_e32 v17, v17, v18
	v_sub_f32_e32 v18, v15, v24
	v_sub_f32_e32 v28, v29, v31
	;; [unrolled: 3-line block ×4, first 2 shown]
	v_add_f32_e32 v46, v39, v33
	v_add_f32_e32 v41, v41, v42
	;; [unrolled: 1-line block ×3, first 2 shown]
	v_fma_f32 v46, -0.5, v46, v19
	v_fma_f32 v42, -0.5, v42, v16
	v_sub_f32_e32 v47, v23, v36
	v_mov_b32_e32 v48, v46
	v_sub_f32_e32 v43, v22, v37
	v_mov_b32_e32 v44, v42
	v_fmac_f32_e32 v48, 0xbf737871, v47
	v_sub_f32_e32 v49, v32, v30
	v_fmac_f32_e32 v44, 0x3f737871, v43
	v_sub_f32_e32 v45, v39, v33
	v_fmac_f32_e32 v48, 0xbf167918, v49
	v_fmac_f32_e32 v44, 0x3f167918, v45
	;; [unrolled: 1-line block ×4, first 2 shown]
	v_mul_f32_e32 v50, 0x3f167918, v48
	v_add_f32_e32 v6, v13, v40
	v_fmac_f32_e32 v50, 0x3f4f1bbd, v44
	v_mul_f32_e32 v44, 0xbf167918, v44
	v_add_f32_e32 v6, v6, v34
	v_fmac_f32_e32 v44, 0x3f4f1bbd, v48
	v_add_f32_e32 v48, v6, v38
	v_add_f32_e32 v6, v14, v24
	;; [unrolled: 1-line block ×7, first 2 shown]
	v_sub_f32_e32 v51, v15, v29
	v_mov_b32_e32 v52, v20
	v_sub_f32_e32 v55, v21, v38
	v_mov_b32_e32 v56, v26
	v_add_f32_e32 v58, v6, v36
	v_add_f32_e32 v6, v19, v22
	v_fmac_f32_e32 v52, 0x3f737871, v51
	v_sub_f32_e32 v53, v24, v31
	v_fmac_f32_e32 v56, 0xbf737871, v55
	v_sub_f32_e32 v57, v40, v34
	v_add_f32_e32 v6, v6, v39
	v_fmac_f32_e32 v52, 0x3f167918, v53
	v_fmac_f32_e32 v56, 0xbf167918, v57
	v_add_f32_e32 v6, v6, v33
	v_fmac_f32_e32 v52, 0x3e9e377a, v17
	v_fmac_f32_e32 v56, 0x3e9e377a, v18
	v_add_f32_e32 v59, v6, v37
	v_add_f32_e32 v6, v48, v58
	v_add_f32_e32 v7, v54, v59
	v_add_f32_e32 v13, v52, v50
	v_add_f32_e32 v14, v56, v44
	s_barrier
	ds_write2_b64 v35, v[6:7], v[13:14] offset1:50
	v_sub_f32_e32 v6, v40, v21
	v_mov_b32_e32 v21, v25
	v_sub_f32_e32 v7, v34, v38
	v_fmac_f32_e32 v21, 0xbf737871, v53
	v_fmac_f32_e32 v25, 0x3f737871, v53
	v_add_f32_e32 v6, v6, v7
	v_fmac_f32_e32 v21, 0x3f167918, v51
	v_fmac_f32_e32 v25, 0xbf167918, v51
	;; [unrolled: 1-line block ×4, first 2 shown]
	v_sub_f32_e32 v6, v24, v15
	v_mov_b32_e32 v15, v27
	v_sub_f32_e32 v7, v31, v29
	v_fmac_f32_e32 v15, 0x3f737871, v57
	v_fmac_f32_e32 v27, 0xbf737871, v57
	v_add_f32_e32 v6, v6, v7
	v_fmac_f32_e32 v15, 0xbf167918, v55
	v_fmac_f32_e32 v27, 0x3f167918, v55
	v_fmac_f32_e32 v15, 0x3e9e377a, v6
	v_fmac_f32_e32 v27, 0x3e9e377a, v6
	v_add_f32_e32 v6, v23, v36
	v_fmac_f32_e32 v16, -0.5, v6
	v_sub_f32_e32 v6, v32, v23
	v_sub_f32_e32 v7, v30, v36
	v_add_f32_e32 v6, v6, v7
	v_mov_b32_e32 v7, v16
	v_fmac_f32_e32 v7, 0xbf737871, v45
	v_fmac_f32_e32 v16, 0x3f737871, v45
	;; [unrolled: 1-line block ×6, first 2 shown]
	v_add_f32_e32 v6, v22, v37
	v_fmac_f32_e32 v19, -0.5, v6
	v_sub_f32_e32 v6, v39, v22
	v_sub_f32_e32 v13, v33, v37
	v_add_f32_e32 v6, v6, v13
	v_mov_b32_e32 v13, v19
	v_fmac_f32_e32 v13, 0x3f737871, v49
	v_fmac_f32_e32 v19, 0xbf737871, v49
	;; [unrolled: 1-line block ×6, first 2 shown]
	v_mul_f32_e32 v6, 0x3e9e377a, v16
	v_mul_f32_e32 v22, 0x3f737871, v13
	v_mul_f32_e32 v23, 0xbf737871, v7
	v_fma_f32 v24, v19, s4, -v6
	v_mul_f32_e32 v6, 0x3e9e377a, v19
	v_fmac_f32_e32 v42, 0xbf737871, v43
	v_fmac_f32_e32 v22, 0x3e9e377a, v7
	;; [unrolled: 1-line block ×3, first 2 shown]
	v_fma_f32 v16, v16, s5, -v6
	v_fmac_f32_e32 v42, 0xbf167918, v45
	v_fmac_f32_e32 v46, 0x3f737871, v47
	v_add_f32_e32 v6, v21, v22
	v_add_f32_e32 v7, v15, v23
	;; [unrolled: 1-line block ×4, first 2 shown]
	v_fmac_f32_e32 v20, 0xbf737871, v51
	v_fmac_f32_e32 v42, 0x3e9e377a, v28
	;; [unrolled: 1-line block ×3, first 2 shown]
	ds_write2_b64 v35, v[6:7], v[13:14] offset0:100 offset1:150
	v_fmac_f32_e32 v20, 0xbf167918, v53
	v_fmac_f32_e32 v26, 0x3f737871, v55
	;; [unrolled: 1-line block ×3, first 2 shown]
	v_mul_f32_e32 v13, 0x3f4f1bbd, v42
	v_fmac_f32_e32 v20, 0x3e9e377a, v17
	v_fmac_f32_e32 v26, 0x3f167918, v57
	v_fma_f32 v17, v46, s7, -v13
	v_mul_f32_e32 v13, 0x3f4f1bbd, v46
	v_fmac_f32_e32 v26, 0x3e9e377a, v18
	v_fma_f32 v18, v42, s6, -v13
	v_sub_f32_e32 v6, v48, v58
	v_sub_f32_e32 v7, v54, v59
	v_add_f32_e32 v13, v20, v17
	v_add_f32_e32 v14, v26, v18
	ds_write2_b64 v35, v[13:14], v[6:7] offset0:200 offset1:250
	v_sub_f32_e32 v6, v52, v50
	v_sub_f32_e32 v7, v56, v44
	;; [unrolled: 1-line block ×4, first 2 shown]
	v_add_u32_e32 v19, 0x800, v35
	v_sub_f32_e32 v15, v25, v24
	v_sub_f32_e32 v16, v27, v16
	;; [unrolled: 1-line block ×4, first 2 shown]
	ds_write2_b64 v19, v[6:7], v[13:14] offset0:44 offset1:94
	ds_write2_b64 v19, v[15:16], v[17:18] offset0:144 offset1:194
	v_lshlrev_b32_e32 v6, 2, v5
	v_mov_b32_e32 v7, 0
	v_lshlrev_b64 v[13:14], 3, v[6:7]
	v_mov_b32_e32 v19, s13
	v_add_co_u32_e32 v29, vcc, s12, v13
	v_addc_co_u32_e32 v30, vcc, v19, v14, vcc
	v_lshlrev_b32_e32 v6, 2, v12
	s_waitcnt lgkmcnt(0)
	s_barrier
	global_load_dwordx4 v[13:16], v[29:30], off offset:3920
	v_lshlrev_b64 v[17:18], 3, v[6:7]
	v_add_co_u32_e32 v31, vcc, s12, v17
	v_addc_co_u32_e32 v32, vcc, v19, v18, vcc
	global_load_dwordx4 v[17:20], v[31:32], off offset:3920
	global_load_dwordx4 v[21:24], v[29:30], off offset:3936
	;; [unrolled: 1-line block ×3, first 2 shown]
	ds_read2_b64 v[29:32], v9 offset0:4 offset1:254
	ds_read2_b64 v[33:36], v8 offset1:250
	s_waitcnt vmcnt(3) lgkmcnt(1)
	v_mul_f32_e32 v6, v14, v30
	v_fma_f32 v6, v13, v29, -v6
	v_mul_f32_e32 v29, v14, v29
	s_waitcnt lgkmcnt(0)
	v_mul_f32_e32 v12, v16, v34
	v_fmac_f32_e32 v29, v13, v30
	v_fma_f32 v30, v15, v33, -v12
	v_mul_f32_e32 v33, v16, v33
	s_waitcnt vmcnt(2)
	v_mul_f32_e32 v12, v18, v32
	v_fmac_f32_e32 v33, v15, v34
	v_fma_f32 v34, v17, v31, -v12
	v_mul_f32_e32 v31, v18, v31
	v_mul_f32_e32 v16, v36, v20
	v_fmac_f32_e32 v31, v17, v32
	ds_read2_b64 v[12:15], v10 offset0:4 offset1:254
	v_fma_f32 v32, v35, v19, -v16
	v_mul_f32_e32 v35, v35, v20
	v_fmac_f32_e32 v35, v36, v19
	ds_read2_b64 v[16:19], v11 offset1:250
	s_waitcnt vmcnt(1) lgkmcnt(1)
	v_mul_f32_e32 v20, v22, v13
	v_fma_f32 v36, v21, v12, -v20
	v_mul_f32_e32 v37, v22, v12
	v_fmac_f32_e32 v37, v21, v13
	s_waitcnt lgkmcnt(0)
	v_mul_f32_e32 v12, v24, v17
	v_fma_f32 v38, v23, v16, -v12
	s_waitcnt vmcnt(0)
	v_mul_f32_e32 v12, v15, v26
	v_mul_f32_e32 v26, v14, v26
	v_fma_f32 v39, v14, v25, -v12
	v_fmac_f32_e32 v26, v15, v25
	ds_read2_b64 v[12:15], v0 offset1:250
	v_mul_f32_e32 v24, v24, v16
	v_mul_f32_e32 v16, v19, v28
	;; [unrolled: 1-line block ×3, first 2 shown]
	v_fmac_f32_e32 v24, v23, v17
	v_fma_f32 v25, v18, v27, -v16
	v_fmac_f32_e32 v28, v19, v27
	s_waitcnt lgkmcnt(0)
	v_add_f32_e32 v16, v12, v6
	v_add_f32_e32 v17, v13, v29
	;; [unrolled: 1-line block ×16, first 2 shown]
	s_barrier
	ds_write2_b64 v0, v[16:17], v[18:19] offset1:250
	v_sub_f32_e32 v18, v29, v33
	v_sub_f32_e32 v19, v24, v37
	;; [unrolled: 1-line block ×4, first 2 shown]
	v_add_f32_e32 v27, v18, v19
	v_sub_f32_e32 v18, v34, v32
	v_sub_f32_e32 v19, v25, v39
	v_add_f32_e32 v0, v0, v16
	v_add_f32_e32 v16, v30, v36
	;; [unrolled: 1-line block ×6, first 2 shown]
	v_fma_f32 v16, -0.5, v16, v12
	v_fma_f32 v17, -0.5, v17, v13
	;; [unrolled: 1-line block ×4, first 2 shown]
	v_sub_f32_e32 v20, v31, v35
	v_sub_f32_e32 v21, v28, v26
	v_add_f32_e32 v41, v20, v21
	v_sub_f32_e32 v42, v29, v24
	v_mov_b32_e32 v20, v16
	v_mov_b32_e32 v21, v17
	v_sub_f32_e32 v44, v6, v38
	v_sub_f32_e32 v46, v31, v28
	v_mov_b32_e32 v22, v18
	v_mov_b32_e32 v23, v19
	v_sub_f32_e32 v48, v34, v25
	v_fmac_f32_e32 v20, 0x3f737871, v42
	v_sub_f32_e32 v43, v33, v37
	v_fmac_f32_e32 v21, 0xbf737871, v44
	;; [unrolled: 2-line block ×5, first 2 shown]
	v_fmac_f32_e32 v21, 0xbf167918, v45
	v_fmac_f32_e32 v22, 0x3f167918, v47
	;; [unrolled: 1-line block ×7, first 2 shown]
	ds_write2_b64 v9, v[20:21], v[22:23] offset0:4 offset1:254
	v_sub_f32_e32 v9, v30, v6
	v_add_f32_e32 v6, v6, v38
	v_sub_f32_e32 v20, v36, v38
	v_fma_f32 v12, -0.5, v6, v12
	v_add_f32_e32 v6, v29, v24
	v_add_f32_e32 v9, v9, v20
	v_fma_f32 v13, -0.5, v6, v13
	v_sub_f32_e32 v6, v33, v29
	v_sub_f32_e32 v20, v37, v24
	v_add_f32_e32 v6, v6, v20
	v_add_f32_e32 v20, v34, v25
	v_fma_f32 v14, -0.5, v20, v14
	v_sub_f32_e32 v20, v32, v34
	v_sub_f32_e32 v21, v39, v25
	v_add_f32_e32 v24, v20, v21
	v_add_f32_e32 v20, v31, v28
	v_fmac_f32_e32 v15, -0.5, v20
	v_sub_f32_e32 v20, v35, v31
	v_sub_f32_e32 v21, v26, v28
	v_add_f32_e32 v25, v20, v21
	v_mov_b32_e32 v20, v12
	v_mov_b32_e32 v21, v13
	;; [unrolled: 1-line block ×4, first 2 shown]
	v_fmac_f32_e32 v20, 0xbf737871, v43
	v_fmac_f32_e32 v21, 0x3f737871, v45
	;; [unrolled: 1-line block ×32, first 2 shown]
	ds_write2_b64 v8, v[20:21], v[22:23] offset1:250
	v_fmac_f32_e32 v16, 0x3e9e377a, v0
	v_fmac_f32_e32 v17, 0x3e9e377a, v27
	;; [unrolled: 1-line block ×4, first 2 shown]
	ds_write2_b64 v10, v[12:13], v[14:15] offset0:4 offset1:254
	ds_write2_b64 v11, v[16:17], v[18:19] offset1:250
	s_waitcnt lgkmcnt(0)
	s_barrier
	s_and_saveexec_b64 s[4:5], s[0:1]
	s_cbranch_execz .LBB0_21
; %bb.20:
	v_mul_lo_u32 v0, s3, v3
	v_mul_lo_u32 v6, s2, v4
	v_mad_u64_u32 v[3:4], s[0:1], s2, v3, 0
	v_lshl_add_u32 v12, v5, 3, 0
	ds_read2_b64 v[8:11], v12 offset1:250
	v_add3_u32 v4, v4, v6, v0
	v_lshlrev_b64 v[3:4], 3, v[3:4]
	v_mov_b32_e32 v0, s11
	v_add_co_u32_e32 v3, vcc, s10, v3
	v_addc_co_u32_e32 v4, vcc, v0, v4, vcc
	v_lshlrev_b64 v[0:1], 3, v[1:2]
	v_mov_b32_e32 v6, v7
	v_add_co_u32_e32 v13, vcc, v3, v0
	v_addc_co_u32_e32 v4, vcc, v4, v1, vcc
	v_lshlrev_b64 v[0:1], 3, v[5:6]
	v_add_u32_e32 v6, 0xfa, v5
	v_add_co_u32_e32 v0, vcc, v13, v0
	v_addc_co_u32_e32 v1, vcc, v4, v1, vcc
	s_waitcnt lgkmcnt(0)
	global_store_dwordx2 v[0:1], v[8:9], off
	v_lshlrev_b64 v[0:1], 3, v[6:7]
	v_add_u32_e32 v6, 0x1f4, v5
	v_add_co_u32_e32 v0, vcc, v13, v0
	v_addc_co_u32_e32 v1, vcc, v4, v1, vcc
	global_store_dwordx2 v[0:1], v[10:11], off
	v_add_u32_e32 v0, 0xf80, v12
	ds_read2_b64 v[0:3], v0 offset0:4 offset1:254
	v_lshlrev_b64 v[8:9], 3, v[6:7]
	v_add_u32_e32 v6, 0x2ee, v5
	v_add_co_u32_e32 v8, vcc, v13, v8
	v_addc_co_u32_e32 v9, vcc, v4, v9, vcc
	s_waitcnt lgkmcnt(0)
	global_store_dwordx2 v[8:9], v[0:1], off
	v_lshlrev_b64 v[0:1], 3, v[6:7]
	v_add_u32_e32 v6, 0x3e8, v5
	v_add_co_u32_e32 v0, vcc, v13, v0
	v_addc_co_u32_e32 v1, vcc, v4, v1, vcc
	global_store_dwordx2 v[0:1], v[2:3], off
	v_add_u32_e32 v0, 0x1f40, v12
	ds_read2_b64 v[0:3], v0 offset1:250
	v_lshlrev_b64 v[8:9], 3, v[6:7]
	v_add_u32_e32 v6, 0x4e2, v5
	v_add_co_u32_e32 v8, vcc, v13, v8
	v_addc_co_u32_e32 v9, vcc, v4, v9, vcc
	s_waitcnt lgkmcnt(0)
	global_store_dwordx2 v[8:9], v[0:1], off
	v_lshlrev_b64 v[0:1], 3, v[6:7]
	v_add_u32_e32 v6, 0x5dc, v5
	v_add_co_u32_e32 v0, vcc, v13, v0
	v_addc_co_u32_e32 v1, vcc, v4, v1, vcc
	global_store_dwordx2 v[0:1], v[2:3], off
	v_add_u32_e32 v0, 0x2ec0, v12
	ds_read2_b64 v[0:3], v0 offset0:4 offset1:254
	v_lshlrev_b64 v[8:9], 3, v[6:7]
	v_add_u32_e32 v6, 0x6d6, v5
	v_add_co_u32_e32 v8, vcc, v13, v8
	v_addc_co_u32_e32 v9, vcc, v4, v9, vcc
	s_waitcnt lgkmcnt(0)
	global_store_dwordx2 v[8:9], v[0:1], off
	v_lshlrev_b64 v[0:1], 3, v[6:7]
	v_add_u32_e32 v6, 0x7d0, v5
	v_add_co_u32_e32 v0, vcc, v13, v0
	v_addc_co_u32_e32 v1, vcc, v4, v1, vcc
	global_store_dwordx2 v[0:1], v[2:3], off
	v_add_u32_e32 v0, 0x3e80, v12
	ds_read2_b64 v[0:3], v0 offset1:250
	v_lshlrev_b64 v[8:9], 3, v[6:7]
	v_add_u32_e32 v6, 0x8ca, v5
	v_add_co_u32_e32 v8, vcc, v13, v8
	v_addc_co_u32_e32 v9, vcc, v4, v9, vcc
	s_waitcnt lgkmcnt(0)
	global_store_dwordx2 v[8:9], v[0:1], off
	v_lshlrev_b64 v[0:1], 3, v[6:7]
	v_add_co_u32_e32 v0, vcc, v13, v0
	v_addc_co_u32_e32 v1, vcc, v4, v1, vcc
	global_store_dwordx2 v[0:1], v[2:3], off
.LBB0_21:
	s_endpgm
	.section	.rodata,"a",@progbits
	.p2align	6, 0x0
	.amdhsa_kernel fft_rtc_fwd_len2500_factors_10_5_10_5_wgs_250_tpt_250_halfLds_sp_op_CI_CI_unitstride_sbrr_C2R_dirReg
		.amdhsa_group_segment_fixed_size 0
		.amdhsa_private_segment_fixed_size 0
		.amdhsa_kernarg_size 104
		.amdhsa_user_sgpr_count 6
		.amdhsa_user_sgpr_private_segment_buffer 1
		.amdhsa_user_sgpr_dispatch_ptr 0
		.amdhsa_user_sgpr_queue_ptr 0
		.amdhsa_user_sgpr_kernarg_segment_ptr 1
		.amdhsa_user_sgpr_dispatch_id 0
		.amdhsa_user_sgpr_flat_scratch_init 0
		.amdhsa_user_sgpr_private_segment_size 0
		.amdhsa_uses_dynamic_stack 0
		.amdhsa_system_sgpr_private_segment_wavefront_offset 0
		.amdhsa_system_sgpr_workgroup_id_x 1
		.amdhsa_system_sgpr_workgroup_id_y 0
		.amdhsa_system_sgpr_workgroup_id_z 0
		.amdhsa_system_sgpr_workgroup_info 0
		.amdhsa_system_vgpr_workitem_id 0
		.amdhsa_next_free_vgpr 60
		.amdhsa_next_free_sgpr 28
		.amdhsa_reserve_vcc 1
		.amdhsa_reserve_flat_scratch 0
		.amdhsa_float_round_mode_32 0
		.amdhsa_float_round_mode_16_64 0
		.amdhsa_float_denorm_mode_32 3
		.amdhsa_float_denorm_mode_16_64 3
		.amdhsa_dx10_clamp 1
		.amdhsa_ieee_mode 1
		.amdhsa_fp16_overflow 0
		.amdhsa_exception_fp_ieee_invalid_op 0
		.amdhsa_exception_fp_denorm_src 0
		.amdhsa_exception_fp_ieee_div_zero 0
		.amdhsa_exception_fp_ieee_overflow 0
		.amdhsa_exception_fp_ieee_underflow 0
		.amdhsa_exception_fp_ieee_inexact 0
		.amdhsa_exception_int_div_zero 0
	.end_amdhsa_kernel
	.text
.Lfunc_end0:
	.size	fft_rtc_fwd_len2500_factors_10_5_10_5_wgs_250_tpt_250_halfLds_sp_op_CI_CI_unitstride_sbrr_C2R_dirReg, .Lfunc_end0-fft_rtc_fwd_len2500_factors_10_5_10_5_wgs_250_tpt_250_halfLds_sp_op_CI_CI_unitstride_sbrr_C2R_dirReg
                                        ; -- End function
	.section	.AMDGPU.csdata,"",@progbits
; Kernel info:
; codeLenInByte = 7476
; NumSgprs: 32
; NumVgprs: 60
; ScratchSize: 0
; MemoryBound: 0
; FloatMode: 240
; IeeeMode: 1
; LDSByteSize: 0 bytes/workgroup (compile time only)
; SGPRBlocks: 3
; VGPRBlocks: 14
; NumSGPRsForWavesPerEU: 32
; NumVGPRsForWavesPerEU: 60
; Occupancy: 4
; WaveLimiterHint : 1
; COMPUTE_PGM_RSRC2:SCRATCH_EN: 0
; COMPUTE_PGM_RSRC2:USER_SGPR: 6
; COMPUTE_PGM_RSRC2:TRAP_HANDLER: 0
; COMPUTE_PGM_RSRC2:TGID_X_EN: 1
; COMPUTE_PGM_RSRC2:TGID_Y_EN: 0
; COMPUTE_PGM_RSRC2:TGID_Z_EN: 0
; COMPUTE_PGM_RSRC2:TIDIG_COMP_CNT: 0
	.type	__hip_cuid_9623b3c68a1670c9,@object ; @__hip_cuid_9623b3c68a1670c9
	.section	.bss,"aw",@nobits
	.globl	__hip_cuid_9623b3c68a1670c9
__hip_cuid_9623b3c68a1670c9:
	.byte	0                               ; 0x0
	.size	__hip_cuid_9623b3c68a1670c9, 1

	.ident	"AMD clang version 19.0.0git (https://github.com/RadeonOpenCompute/llvm-project roc-6.4.0 25133 c7fe45cf4b819c5991fe208aaa96edf142730f1d)"
	.section	".note.GNU-stack","",@progbits
	.addrsig
	.addrsig_sym __hip_cuid_9623b3c68a1670c9
	.amdgpu_metadata
---
amdhsa.kernels:
  - .args:
      - .actual_access:  read_only
        .address_space:  global
        .offset:         0
        .size:           8
        .value_kind:     global_buffer
      - .offset:         8
        .size:           8
        .value_kind:     by_value
      - .actual_access:  read_only
        .address_space:  global
        .offset:         16
        .size:           8
        .value_kind:     global_buffer
      - .actual_access:  read_only
        .address_space:  global
        .offset:         24
        .size:           8
        .value_kind:     global_buffer
      - .actual_access:  read_only
        .address_space:  global
        .offset:         32
        .size:           8
        .value_kind:     global_buffer
      - .offset:         40
        .size:           8
        .value_kind:     by_value
      - .actual_access:  read_only
        .address_space:  global
        .offset:         48
        .size:           8
        .value_kind:     global_buffer
      - .actual_access:  read_only
        .address_space:  global
        .offset:         56
        .size:           8
        .value_kind:     global_buffer
      - .offset:         64
        .size:           4
        .value_kind:     by_value
      - .actual_access:  read_only
        .address_space:  global
        .offset:         72
        .size:           8
        .value_kind:     global_buffer
      - .actual_access:  read_only
        .address_space:  global
        .offset:         80
        .size:           8
        .value_kind:     global_buffer
      - .actual_access:  read_only
        .address_space:  global
        .offset:         88
        .size:           8
        .value_kind:     global_buffer
      - .actual_access:  write_only
        .address_space:  global
        .offset:         96
        .size:           8
        .value_kind:     global_buffer
    .group_segment_fixed_size: 0
    .kernarg_segment_align: 8
    .kernarg_segment_size: 104
    .language:       OpenCL C
    .language_version:
      - 2
      - 0
    .max_flat_workgroup_size: 250
    .name:           fft_rtc_fwd_len2500_factors_10_5_10_5_wgs_250_tpt_250_halfLds_sp_op_CI_CI_unitstride_sbrr_C2R_dirReg
    .private_segment_fixed_size: 0
    .sgpr_count:     32
    .sgpr_spill_count: 0
    .symbol:         fft_rtc_fwd_len2500_factors_10_5_10_5_wgs_250_tpt_250_halfLds_sp_op_CI_CI_unitstride_sbrr_C2R_dirReg.kd
    .uniform_work_group_size: 1
    .uses_dynamic_stack: false
    .vgpr_count:     60
    .vgpr_spill_count: 0
    .wavefront_size: 64
amdhsa.target:   amdgcn-amd-amdhsa--gfx906
amdhsa.version:
  - 1
  - 2
...

	.end_amdgpu_metadata
